;; amdgpu-corpus repo=LLNL/RAJAPerf kind=compiled arch=gfx90a opt=O3
	.text
	.amdgcn_target "amdgcn-amd-amdhsa--gfx90a"
	.amdhsa_code_object_version 6
	.section	.text._ZN8rajaperf5basic14mat_mat_sharedILl16EEEvlPdS2_S2_,"axG",@progbits,_ZN8rajaperf5basic14mat_mat_sharedILl16EEEvlPdS2_S2_,comdat
	.protected	_ZN8rajaperf5basic14mat_mat_sharedILl16EEEvlPdS2_S2_ ; -- Begin function _ZN8rajaperf5basic14mat_mat_sharedILl16EEEvlPdS2_S2_
	.globl	_ZN8rajaperf5basic14mat_mat_sharedILl16EEEvlPdS2_S2_
	.p2align	8
	.type	_ZN8rajaperf5basic14mat_mat_sharedILl16EEEvlPdS2_S2_,@function
_ZN8rajaperf5basic14mat_mat_sharedILl16EEEvlPdS2_S2_: ; @_ZN8rajaperf5basic14mat_mat_sharedILl16EEEvlPdS2_S2_
; %bb.0:
	s_load_dwordx8 s[8:15], s[4:5], 0x0
	v_and_b32_e32 v2, 0x3ff, v0
	s_mov_b32 s0, s7
	s_mov_b32 s7, 0
	v_mov_b32_e32 v3, 0
	v_bfe_u32 v0, v0, 10, 10
	v_lshlrev_b32_e32 v10, 3, v2
	s_waitcnt lgkmcnt(0)
	v_cmp_gt_i64_e64 s[4:5], s[8:9], 0
	v_mov_b32_e32 v1, v3
	s_mov_b32 s1, s7
	v_lshl_add_u32 v8, v0, 7, v10
	v_mov_b32_e32 v4, v3
	v_mov_b32_e32 v5, v3
	s_mov_b64 s[2:3], 0
	s_and_b64 vcc, exec, s[4:5]
	ds_write_b64 v8, v[4:5] offset:4096
	s_cbranch_vccnz .LBB0_2
; %bb.1:
	s_lshl_b64 s[4:5], s[0:1], 4
	v_mov_b32_e32 v5, s5
	v_add_co_u32_e32 v4, vcc, s4, v0
	v_addc_co_u32_e32 v5, vcc, 0, v5, vcc
	s_lshl_b64 s[4:5], s[6:7], 4
	v_mov_b32_e32 v7, s5
	v_add_co_u32_e32 v6, vcc, s4, v2
	v_addc_co_u32_e32 v7, vcc, 0, v7, vcc
	s_andn2_b64 vcc, exec, s[2:3]
	v_add_u32_e32 v16, 0x1000, v8
	s_cbranch_vccz .LBB0_3
	s_branch .LBB0_9
.LBB0_2:
                                        ; implicit-def: $vgpr4_vgpr5
                                        ; implicit-def: $vgpr6_vgpr7
	v_add_u32_e32 v16, 0x1000, v8
.LBB0_3:
	s_add_u32 s2, s8, 15
	s_addc_u32 s3, s9, 0
	s_lshl_b64 s[0:1], s[0:1], 4
	v_mov_b32_e32 v5, s1
	v_add_co_u32_e32 v4, vcc, s0, v0
	v_addc_co_u32_e32 v5, vcc, 0, v5, vcc
	s_lshr_b64 s[4:5], s[2:3], 4
	s_lshl_b64 s[0:1], s[6:7], 4
	v_mul_lo_u32 v11, v5, s8
	v_mul_lo_u32 v12, v4, s9
	v_mad_u64_u32 v[8:9], s[2:3], v4, s8, 0
	v_mov_b32_e32 v7, s1
	v_add_co_u32_e32 v6, vcc, s0, v2
	v_add3_u32 v9, v9, v12, v11
	v_addc_co_u32_e32 v7, vcc, 0, v7, vcc
	v_lshlrev_b64 v[8:9], 3, v[8:9]
	v_mov_b32_e32 v11, s13
	v_add_co_u32_e32 v8, vcc, s12, v8
	v_mad_u64_u32 v[12:13], s[12:13], s8, v0, 0
	v_mov_b32_e32 v14, v13
	v_addc_co_u32_e32 v9, vcc, v11, v9, vcc
	v_mad_u64_u32 v[14:15], s[12:13], s9, v0, v[14:15]
	v_add_co_u32_e32 v8, vcc, v8, v10
	v_mov_b32_e32 v13, v14
	v_addc_co_u32_e32 v9, vcc, 0, v9, vcc
	v_lshlrev_b64 v[12:13], 3, v[12:13]
	s_lshl_b64 s[6:7], s[6:7], 7
	v_mov_b32_e32 v11, s7
	v_add_co_u32_e32 v12, vcc, s6, v12
	v_lshlrev_b32_e32 v17, 7, v0
	v_addc_co_u32_e32 v11, vcc, v13, v11, vcc
	v_add_u32_e32 v18, v17, v10
	v_add_u32_e32 v19, 0x800, v10
	v_add_co_u32_e32 v10, vcc, v12, v10
	v_addc_co_u32_e32 v11, vcc, 0, v11, vcc
	v_mov_b32_e32 v12, s15
	v_add_co_u32_e32 v10, vcc, s14, v10
	s_lshl_b64 s[6:7], s[8:9], 7
	v_cmp_gt_u64_e64 s[0:1], s[8:9], v[4:5]
	v_cmp_gt_u64_e64 s[2:3], s[8:9], v[6:7]
	v_add_u32_e32 v20, v19, v17
	v_addc_co_u32_e32 v11, vcc, v12, v11, vcc
	s_movk_i32 s14, 0x80
	v_mov_b32_e32 v21, s7
	s_branch .LBB0_5
.LBB0_4:                                ;   in Loop: Header=BB0_5 Depth=1
	s_or_b64 exec, exec, s[12:13]
	s_waitcnt vmcnt(0)
	ds_write_b64 v20, v[12:13]
	s_waitcnt lgkmcnt(0)
	s_barrier
	ds_read_b64 v[42:43], v16
	ds_read_b128 v[12:15], v17
	ds_read2_b64 v[22:25], v19 offset1:16
	ds_read2_b64 v[26:29], v19 offset0:32 offset1:48
	ds_read_b128 v[30:33], v17 offset:16
	ds_read_b128 v[34:37], v17 offset:32
	v_add_co_u32_e32 v8, vcc, s14, v8
	s_waitcnt lgkmcnt(3)
	v_fmac_f64_e32 v[42:43], v[12:13], v[22:23]
	v_fmac_f64_e32 v[42:43], v[14:15], v[24:25]
	s_waitcnt lgkmcnt(1)
	v_fmac_f64_e32 v[42:43], v[30:31], v[26:27]
	v_fmac_f64_e32 v[42:43], v[32:33], v[28:29]
	ds_read2_b64 v[12:15], v19 offset0:64 offset1:80
	ds_read2_b64 v[22:25], v19 offset0:96 offset1:112
	ds_read_b128 v[26:29], v17 offset:48
	ds_read_b128 v[30:33], v17 offset:64
	ds_read2_b64 v[38:41], v19 offset0:128 offset1:144
	s_waitcnt lgkmcnt(4)
	v_fmac_f64_e32 v[42:43], v[34:35], v[12:13]
	v_fmac_f64_e32 v[42:43], v[36:37], v[14:15]
	s_waitcnt lgkmcnt(2)
	v_fmac_f64_e32 v[42:43], v[26:27], v[22:23]
	v_fmac_f64_e32 v[42:43], v[28:29], v[24:25]
	;; [unrolled: 3-line block ×3, first 2 shown]
	ds_read2_b64 v[12:15], v19 offset0:160 offset1:176
	ds_read_b128 v[22:25], v17 offset:80
	ds_read_b128 v[26:29], v17 offset:96
	ds_read2_b64 v[30:33], v19 offset0:192 offset1:208
	ds_read_b128 v[34:37], v17 offset:112
	ds_read2_b64 v[38:41], v19 offset0:224 offset1:240
	v_addc_co_u32_e32 v9, vcc, 0, v9, vcc
	s_waitcnt lgkmcnt(4)
	v_fmac_f64_e32 v[42:43], v[22:23], v[12:13]
	v_add_co_u32_e32 v2, vcc, 16, v2
	v_fmac_f64_e32 v[42:43], v[24:25], v[14:15]
	v_addc_co_u32_e32 v3, vcc, 0, v3, vcc
	s_waitcnt lgkmcnt(2)
	v_fmac_f64_e32 v[42:43], v[26:27], v[30:31]
	v_add_co_u32_e32 v10, vcc, s6, v10
	v_fmac_f64_e32 v[42:43], v[28:29], v[32:33]
	s_add_u32 s4, s4, -1
	v_addc_co_u32_e32 v11, vcc, v11, v21, vcc
	s_waitcnt lgkmcnt(0)
	v_fmac_f64_e32 v[42:43], v[34:35], v[38:39]
	s_addc_u32 s5, s5, -1
	v_add_co_u32_e32 v0, vcc, 16, v0
	v_fmac_f64_e32 v[42:43], v[36:37], v[40:41]
	s_cmp_eq_u64 s[4:5], 0
	v_addc_co_u32_e32 v1, vcc, 0, v1, vcc
	ds_write_b64 v16, v[42:43]
	s_waitcnt lgkmcnt(0)
	s_barrier
	s_cbranch_scc1 .LBB0_9
.LBB0_5:                                ; =>This Inner Loop Header: Depth=1
	v_cmp_gt_i64_e32 vcc, s[8:9], v[2:3]
	v_pk_mov_b32 v[12:13], 0, 0
	s_and_b64 s[16:17], vcc, s[0:1]
	v_pk_mov_b32 v[14:15], v[12:13], v[12:13] op_sel:[0,1]
	s_and_saveexec_b64 s[12:13], s[16:17]
	s_cbranch_execz .LBB0_7
; %bb.6:                                ;   in Loop: Header=BB0_5 Depth=1
	global_load_dwordx2 v[14:15], v[8:9], off
.LBB0_7:                                ;   in Loop: Header=BB0_5 Depth=1
	s_or_b64 exec, exec, s[12:13]
	v_cmp_gt_i64_e32 vcc, s[8:9], v[0:1]
	s_and_b64 s[16:17], vcc, s[2:3]
	s_waitcnt vmcnt(0)
	ds_write_b64 v18, v[14:15]
	s_and_saveexec_b64 s[12:13], s[16:17]
	s_cbranch_execz .LBB0_4
; %bb.8:                                ;   in Loop: Header=BB0_5 Depth=1
	global_load_dwordx2 v[12:13], v[10:11], off
	s_branch .LBB0_4
.LBB0_9:
	v_cmp_gt_i64_e32 vcc, s[8:9], v[4:5]
	v_cmp_gt_i64_e64 s[0:1], s[8:9], v[6:7]
	s_and_b64 s[0:1], vcc, s[0:1]
	s_and_saveexec_b64 s[2:3], s[0:1]
	s_cbranch_execz .LBB0_11
; %bb.10:
	v_mul_lo_u32 v5, v5, s8
	v_mul_lo_u32 v8, v4, s9
	v_mad_u64_u32 v[2:3], s[0:1], v4, s8, 0
	ds_read_b64 v[0:1], v16
	v_add3_u32 v3, v3, v8, v5
	v_lshlrev_b64 v[4:5], 3, v[6:7]
	v_mov_b32_e32 v6, s11
	v_add_co_u32_e32 v4, vcc, s10, v4
	v_addc_co_u32_e32 v5, vcc, v6, v5, vcc
	v_lshlrev_b64 v[2:3], 3, v[2:3]
	v_add_co_u32_e32 v2, vcc, v4, v2
	v_addc_co_u32_e32 v3, vcc, v5, v3, vcc
	s_waitcnt lgkmcnt(0)
	global_store_dwordx2 v[2:3], v[0:1], off
.LBB0_11:
	s_endpgm
	.section	.rodata,"a",@progbits
	.p2align	6, 0x0
	.amdhsa_kernel _ZN8rajaperf5basic14mat_mat_sharedILl16EEEvlPdS2_S2_
		.amdhsa_group_segment_fixed_size 6144
		.amdhsa_private_segment_fixed_size 0
		.amdhsa_kernarg_size 32
		.amdhsa_user_sgpr_count 6
		.amdhsa_user_sgpr_private_segment_buffer 1
		.amdhsa_user_sgpr_dispatch_ptr 0
		.amdhsa_user_sgpr_queue_ptr 0
		.amdhsa_user_sgpr_kernarg_segment_ptr 1
		.amdhsa_user_sgpr_dispatch_id 0
		.amdhsa_user_sgpr_flat_scratch_init 0
		.amdhsa_user_sgpr_kernarg_preload_length 0
		.amdhsa_user_sgpr_kernarg_preload_offset 0
		.amdhsa_user_sgpr_private_segment_size 0
		.amdhsa_uses_dynamic_stack 0
		.amdhsa_system_sgpr_private_segment_wavefront_offset 0
		.amdhsa_system_sgpr_workgroup_id_x 1
		.amdhsa_system_sgpr_workgroup_id_y 1
		.amdhsa_system_sgpr_workgroup_id_z 0
		.amdhsa_system_sgpr_workgroup_info 0
		.amdhsa_system_vgpr_workitem_id 1
		.amdhsa_next_free_vgpr 44
		.amdhsa_next_free_sgpr 18
		.amdhsa_accum_offset 44
		.amdhsa_reserve_vcc 1
		.amdhsa_reserve_flat_scratch 0
		.amdhsa_float_round_mode_32 0
		.amdhsa_float_round_mode_16_64 0
		.amdhsa_float_denorm_mode_32 3
		.amdhsa_float_denorm_mode_16_64 3
		.amdhsa_dx10_clamp 1
		.amdhsa_ieee_mode 1
		.amdhsa_fp16_overflow 0
		.amdhsa_tg_split 0
		.amdhsa_exception_fp_ieee_invalid_op 0
		.amdhsa_exception_fp_denorm_src 0
		.amdhsa_exception_fp_ieee_div_zero 0
		.amdhsa_exception_fp_ieee_overflow 0
		.amdhsa_exception_fp_ieee_underflow 0
		.amdhsa_exception_fp_ieee_inexact 0
		.amdhsa_exception_int_div_zero 0
	.end_amdhsa_kernel
	.section	.text._ZN8rajaperf5basic14mat_mat_sharedILl16EEEvlPdS2_S2_,"axG",@progbits,_ZN8rajaperf5basic14mat_mat_sharedILl16EEEvlPdS2_S2_,comdat
.Lfunc_end0:
	.size	_ZN8rajaperf5basic14mat_mat_sharedILl16EEEvlPdS2_S2_, .Lfunc_end0-_ZN8rajaperf5basic14mat_mat_sharedILl16EEEvlPdS2_S2_
                                        ; -- End function
	.section	.AMDGPU.csdata,"",@progbits
; Kernel info:
; codeLenInByte = 900
; NumSgprs: 22
; NumVgprs: 44
; NumAgprs: 0
; TotalNumVgprs: 44
; ScratchSize: 0
; MemoryBound: 0
; FloatMode: 240
; IeeeMode: 1
; LDSByteSize: 6144 bytes/workgroup (compile time only)
; SGPRBlocks: 2
; VGPRBlocks: 5
; NumSGPRsForWavesPerEU: 22
; NumVGPRsForWavesPerEU: 44
; AccumOffset: 44
; Occupancy: 8
; WaveLimiterHint : 0
; COMPUTE_PGM_RSRC2:SCRATCH_EN: 0
; COMPUTE_PGM_RSRC2:USER_SGPR: 6
; COMPUTE_PGM_RSRC2:TRAP_HANDLER: 0
; COMPUTE_PGM_RSRC2:TGID_X_EN: 1
; COMPUTE_PGM_RSRC2:TGID_Y_EN: 1
; COMPUTE_PGM_RSRC2:TGID_Z_EN: 0
; COMPUTE_PGM_RSRC2:TIDIG_COMP_CNT: 1
; COMPUTE_PGM_RSRC3_GFX90A:ACCUM_OFFSET: 10
; COMPUTE_PGM_RSRC3_GFX90A:TG_SPLIT: 0
	.section	.text._ZN8rajaperf10lambda_hipILm256EZNS_5basic14MAT_MAT_SHARED17runHipVariantImplILm256EEEvNS_9VariantIDEEUlvE_EEvT0_,"axG",@progbits,_ZN8rajaperf10lambda_hipILm256EZNS_5basic14MAT_MAT_SHARED17runHipVariantImplILm256EEEvNS_9VariantIDEEUlvE_EEvT0_,comdat
	.protected	_ZN8rajaperf10lambda_hipILm256EZNS_5basic14MAT_MAT_SHARED17runHipVariantImplILm256EEEvNS_9VariantIDEEUlvE_EEvT0_ ; -- Begin function _ZN8rajaperf10lambda_hipILm256EZNS_5basic14MAT_MAT_SHARED17runHipVariantImplILm256EEEvNS_9VariantIDEEUlvE_EEvT0_
	.globl	_ZN8rajaperf10lambda_hipILm256EZNS_5basic14MAT_MAT_SHARED17runHipVariantImplILm256EEEvNS_9VariantIDEEUlvE_EEvT0_
	.p2align	8
	.type	_ZN8rajaperf10lambda_hipILm256EZNS_5basic14MAT_MAT_SHARED17runHipVariantImplILm256EEEvNS_9VariantIDEEUlvE_EEvT0_,@function
_ZN8rajaperf10lambda_hipILm256EZNS_5basic14MAT_MAT_SHARED17runHipVariantImplILm256EEEvNS_9VariantIDEEUlvE_EEvT0_: ; @_ZN8rajaperf10lambda_hipILm256EZNS_5basic14MAT_MAT_SHARED17runHipVariantImplILm256EEEvNS_9VariantIDEEUlvE_EEvT0_
; %bb.0:
	s_load_dwordx2 s[0:1], s[4:5], 0x28
	s_mov_b32 s10, s7
	s_mov_b32 s7, 0
	;; [unrolled: 1-line block ×3, first 2 shown]
	v_pk_mov_b32 v[2:3], s[10:11], s[10:11] op_sel:[0,1]
	s_waitcnt lgkmcnt(0)
	v_cmp_le_i64_e32 vcc, s[0:1], v[2:3]
	s_cbranch_vccnz .LBB1_20
; %bb.1:
	s_load_dwordx2 s[0:1], s[4:5], 0x20
	v_pk_mov_b32 v[2:3], s[6:7], s[6:7] op_sel:[0,1]
	s_waitcnt lgkmcnt(0)
	v_cmp_le_i64_e32 vcc, s[0:1], v[2:3]
	s_cbranch_vccnz .LBB1_20
; %bb.2:
	s_load_dwordx8 s[12:19], s[4:5], 0x0
	v_bfe_u32 v2, v0, 10, 10
	v_cmp_gt_u32_e64 s[0:1], 16, v2
	s_and_saveexec_b64 s[2:3], s[0:1]
	s_cbranch_execz .LBB1_5
; %bb.3:
	v_and_b32_e32 v1, 0x3ff, v0
	v_cmp_gt_u32_e32 vcc, 16, v1
	s_and_b64 exec, exec, vcc
	s_cbranch_execz .LBB1_5
; %bb.4:
	v_lshlrev_b32_e32 v1, 3, v1
	v_mov_b32_e32 v4, 0
	v_lshl_add_u32 v1, v2, 7, v1
	v_mov_b32_e32 v5, v4
	ds_write_b64 v1, v[4:5] offset:4096
.LBB1_5:
	s_or_b64 exec, exec, s[2:3]
	s_waitcnt lgkmcnt(0)
	v_cmp_lt_i64_e64 s[2:3], s[12:13], 1
	s_and_b64 vcc, exec, s[2:3]
	s_cbranch_vccnz .LBB1_16
; %bb.6:
	v_and_b32_e32 v4, 0x3ff, v0
	s_lshl_b64 s[2:3], s[6:7], 4
	v_mov_b32_e32 v1, s3
	v_add_co_u32_e32 v8, vcc, s2, v4
	v_addc_co_u32_e32 v9, vcc, 0, v1, vcc
	v_or_b32_e32 v6, v2, v4
	s_lshl_b64 s[4:5], s[10:11], 4
	v_cmp_gt_u32_e64 s[2:3], 16, v6
	v_mov_b32_e32 v7, s5
	v_add_co_u32_e32 v6, vcc, s4, v2
	s_add_u32 s4, s12, 15
	v_addc_co_u32_e32 v7, vcc, 0, v7, vcc
	s_addc_u32 s5, s13, 0
	s_lshr_b64 s[20:21], s[4:5], 4
	v_cmp_gt_u64_e64 s[4:5], s[12:13], v[6:7]
	v_mul_lo_u32 v10, s13, v6
	v_mul_lo_u32 v11, s12, v7
	v_mad_u64_u32 v[6:7], s[8:9], s12, v6, 0
	v_add3_u32 v7, v7, v11, v10
	v_lshlrev_b64 v[6:7], 3, v[6:7]
	v_mov_b32_e32 v10, s15
	v_add_co_u32_e32 v6, vcc, s14, v6
	v_cmp_gt_u64_e64 s[8:9], s[12:13], v[8:9]
	v_mad_u64_u32 v[8:9], s[14:15], s12, v2, 0
	v_addc_co_u32_e32 v7, vcc, v10, v7, vcc
	v_mov_b32_e32 v10, v9
	v_lshlrev_b32_e32 v12, 3, v4
	v_mad_u64_u32 v[10:11], s[14:15], s13, v2, v[10:11]
	v_add_co_u32_e32 v6, vcc, v6, v12
	v_mov_b32_e32 v9, v10
	v_addc_co_u32_e32 v7, vcc, 0, v7, vcc
	v_lshlrev_b64 v[8:9], 3, v[8:9]
	s_lshl_b64 s[14:15], s[6:7], 7
	v_mov_b32_e32 v10, s15
	v_add_co_u32_e32 v8, vcc, s14, v8
	v_addc_co_u32_e32 v9, vcc, v9, v10, vcc
	v_add_co_u32_e32 v8, vcc, v8, v12
	v_lshlrev_b32_e32 v1, 7, v2
	v_addc_co_u32_e32 v9, vcc, 0, v9, vcc
	v_mov_b32_e32 v3, 0
	v_add_u32_e32 v16, v1, v12
	v_add_u32_e32 v17, 0x800, v12
	v_mov_b32_e32 v10, s17
	v_add_co_u32_e32 v8, vcc, s16, v8
	v_mov_b32_e32 v5, v3
	v_add_u32_e32 v18, v17, v1
	v_add_u32_e32 v19, 0x1000, v16
	v_addc_co_u32_e32 v9, vcc, v10, v9, vcc
	s_lshl_b64 s[14:15], s[12:13], 7
	v_pk_mov_b32 v[10:11], v[2:3], v[2:3] op_sel:[0,1]
	s_branch .LBB1_8
.LBB1_7:                                ;   in Loop: Header=BB1_8 Depth=1
	s_or_b64 exec, exec, s[16:17]
	v_add_co_u32_e32 v6, vcc, 0x80, v6
	v_addc_co_u32_e32 v7, vcc, 0, v7, vcc
	v_mov_b32_e32 v3, s15
	v_add_co_u32_e32 v8, vcc, s14, v8
	v_addc_co_u32_e32 v9, vcc, v9, v3, vcc
	v_add_co_u32_e32 v10, vcc, 16, v10
	v_addc_co_u32_e32 v11, vcc, 0, v11, vcc
	s_add_u32 s20, s20, -1
	s_addc_u32 s21, s21, -1
	v_add_co_u32_e32 v4, vcc, 16, v4
	s_cmp_eq_u64 s[20:21], 0
	v_addc_co_u32_e32 v5, vcc, 0, v5, vcc
	s_waitcnt lgkmcnt(0)
	s_barrier
	s_cbranch_scc1 .LBB1_16
.LBB1_8:                                ; =>This Inner Loop Header: Depth=1
	s_and_saveexec_b64 s[16:17], s[2:3]
	s_cbranch_execz .LBB1_14
; %bb.9:                                ;   in Loop: Header=BB1_8 Depth=1
	v_cmp_gt_i64_e32 vcc, s[12:13], v[4:5]
	v_pk_mov_b32 v[12:13], 0, 0
	s_and_b64 s[24:25], vcc, s[4:5]
	v_pk_mov_b32 v[14:15], v[12:13], v[12:13] op_sel:[0,1]
	s_and_saveexec_b64 s[22:23], s[24:25]
	s_cbranch_execz .LBB1_11
; %bb.10:                               ;   in Loop: Header=BB1_8 Depth=1
	global_load_dwordx2 v[14:15], v[6:7], off
.LBB1_11:                               ;   in Loop: Header=BB1_8 Depth=1
	s_or_b64 exec, exec, s[22:23]
	v_cmp_gt_i64_e32 vcc, s[12:13], v[10:11]
	s_and_b64 s[24:25], vcc, s[8:9]
	s_waitcnt vmcnt(0)
	ds_write_b64 v16, v[14:15]
	s_and_saveexec_b64 s[22:23], s[24:25]
	s_cbranch_execz .LBB1_13
; %bb.12:                               ;   in Loop: Header=BB1_8 Depth=1
	global_load_dwordx2 v[12:13], v[8:9], off
.LBB1_13:                               ;   in Loop: Header=BB1_8 Depth=1
	s_or_b64 exec, exec, s[22:23]
	s_waitcnt vmcnt(0)
	ds_write_b64 v18, v[12:13]
.LBB1_14:                               ;   in Loop: Header=BB1_8 Depth=1
	s_or_b64 exec, exec, s[16:17]
	s_waitcnt lgkmcnt(0)
	s_barrier
	s_and_saveexec_b64 s[16:17], s[2:3]
	s_cbranch_execz .LBB1_7
; %bb.15:                               ;   in Loop: Header=BB1_8 Depth=1
	ds_read_b64 v[40:41], v19
	ds_read_b128 v[12:15], v1
	ds_read2_b64 v[20:23], v17 offset1:16
	ds_read2_b64 v[24:27], v17 offset0:32 offset1:48
	ds_read_b128 v[28:31], v1 offset:16
	ds_read_b128 v[32:35], v1 offset:32
	s_waitcnt lgkmcnt(3)
	v_fmac_f64_e32 v[40:41], v[12:13], v[20:21]
	v_fmac_f64_e32 v[40:41], v[14:15], v[22:23]
	s_waitcnt lgkmcnt(1)
	v_fmac_f64_e32 v[40:41], v[28:29], v[24:25]
	v_fmac_f64_e32 v[40:41], v[30:31], v[26:27]
	ds_read2_b64 v[12:15], v17 offset0:64 offset1:80
	ds_read2_b64 v[20:23], v17 offset0:96 offset1:112
	ds_read_b128 v[24:27], v1 offset:48
	ds_read_b128 v[28:31], v1 offset:64
	ds_read2_b64 v[36:39], v17 offset0:128 offset1:144
	s_waitcnt lgkmcnt(4)
	v_fmac_f64_e32 v[40:41], v[32:33], v[12:13]
	v_fmac_f64_e32 v[40:41], v[34:35], v[14:15]
	s_waitcnt lgkmcnt(2)
	v_fmac_f64_e32 v[40:41], v[24:25], v[20:21]
	v_fmac_f64_e32 v[40:41], v[26:27], v[22:23]
	;; [unrolled: 3-line block ×3, first 2 shown]
	ds_read2_b64 v[12:15], v17 offset0:160 offset1:176
	ds_read_b128 v[20:23], v1 offset:80
	ds_read_b128 v[24:27], v1 offset:96
	ds_read2_b64 v[28:31], v17 offset0:192 offset1:208
	ds_read_b128 v[32:35], v1 offset:112
	ds_read2_b64 v[36:39], v17 offset0:224 offset1:240
	s_waitcnt lgkmcnt(4)
	v_fmac_f64_e32 v[40:41], v[20:21], v[12:13]
	v_fmac_f64_e32 v[40:41], v[22:23], v[14:15]
	s_waitcnt lgkmcnt(2)
	v_fmac_f64_e32 v[40:41], v[24:25], v[28:29]
	v_fmac_f64_e32 v[40:41], v[26:27], v[30:31]
	s_waitcnt lgkmcnt(0)
	v_fmac_f64_e32 v[40:41], v[32:33], v[36:37]
	v_fmac_f64_e32 v[40:41], v[34:35], v[38:39]
	ds_write_b64 v19, v[40:41]
	s_branch .LBB1_7
.LBB1_16:
	s_and_saveexec_b64 s[2:3], s[0:1]
	s_cbranch_execz .LBB1_20
; %bb.17:
	v_and_b32_e32 v3, 0x3ff, v0
	v_cmp_gt_u32_e32 vcc, 16, v3
	s_and_b64 exec, exec, vcc
	s_cbranch_execz .LBB1_20
; %bb.18:
	s_lshl_b64 s[0:1], s[10:11], 4
	v_or_b32_e32 v0, s0, v2
	v_mov_b32_e32 v1, s1
	s_lshl_b64 s[0:1], s[6:7], 4
	v_or_b32_e32 v4, s0, v3
	v_mov_b32_e32 v5, s1
	v_cmp_gt_i64_e32 vcc, s[12:13], v[0:1]
	v_cmp_gt_i64_e64 s[0:1], s[12:13], v[4:5]
	s_and_b64 s[0:1], vcc, s[0:1]
	s_and_b64 exec, exec, s[0:1]
	s_cbranch_execz .LBB1_20
; %bb.19:
	v_lshlrev_b32_e32 v3, 3, v3
	v_lshl_add_u32 v2, v2, 7, v3
	ds_read_b64 v[2:3], v2 offset:4096
	v_mul_lo_u32 v6, s13, v0
	v_mul_lo_u32 v7, s12, v1
	v_mad_u64_u32 v[0:1], s[0:1], s12, v0, 0
	v_lshlrev_b64 v[4:5], 3, v[4:5]
	v_add3_u32 v1, v1, v7, v6
	v_mov_b32_e32 v6, s19
	v_add_co_u32_e32 v4, vcc, s18, v4
	v_addc_co_u32_e32 v5, vcc, v6, v5, vcc
	v_lshlrev_b64 v[0:1], 3, v[0:1]
	v_add_co_u32_e32 v0, vcc, v4, v0
	v_addc_co_u32_e32 v1, vcc, v5, v1, vcc
	s_waitcnt lgkmcnt(0)
	global_store_dwordx2 v[0:1], v[2:3], off
.LBB1_20:
	s_endpgm
	.section	.rodata,"a",@progbits
	.p2align	6, 0x0
	.amdhsa_kernel _ZN8rajaperf10lambda_hipILm256EZNS_5basic14MAT_MAT_SHARED17runHipVariantImplILm256EEEvNS_9VariantIDEEUlvE_EEvT0_
		.amdhsa_group_segment_fixed_size 6144
		.amdhsa_private_segment_fixed_size 0
		.amdhsa_kernarg_size 48
		.amdhsa_user_sgpr_count 6
		.amdhsa_user_sgpr_private_segment_buffer 1
		.amdhsa_user_sgpr_dispatch_ptr 0
		.amdhsa_user_sgpr_queue_ptr 0
		.amdhsa_user_sgpr_kernarg_segment_ptr 1
		.amdhsa_user_sgpr_dispatch_id 0
		.amdhsa_user_sgpr_flat_scratch_init 0
		.amdhsa_user_sgpr_kernarg_preload_length 0
		.amdhsa_user_sgpr_kernarg_preload_offset 0
		.amdhsa_user_sgpr_private_segment_size 0
		.amdhsa_uses_dynamic_stack 0
		.amdhsa_system_sgpr_private_segment_wavefront_offset 0
		.amdhsa_system_sgpr_workgroup_id_x 1
		.amdhsa_system_sgpr_workgroup_id_y 1
		.amdhsa_system_sgpr_workgroup_id_z 0
		.amdhsa_system_sgpr_workgroup_info 0
		.amdhsa_system_vgpr_workitem_id 1
		.amdhsa_next_free_vgpr 42
		.amdhsa_next_free_sgpr 26
		.amdhsa_accum_offset 44
		.amdhsa_reserve_vcc 1
		.amdhsa_reserve_flat_scratch 0
		.amdhsa_float_round_mode_32 0
		.amdhsa_float_round_mode_16_64 0
		.amdhsa_float_denorm_mode_32 3
		.amdhsa_float_denorm_mode_16_64 3
		.amdhsa_dx10_clamp 1
		.amdhsa_ieee_mode 1
		.amdhsa_fp16_overflow 0
		.amdhsa_tg_split 0
		.amdhsa_exception_fp_ieee_invalid_op 0
		.amdhsa_exception_fp_denorm_src 0
		.amdhsa_exception_fp_ieee_div_zero 0
		.amdhsa_exception_fp_ieee_overflow 0
		.amdhsa_exception_fp_ieee_underflow 0
		.amdhsa_exception_fp_ieee_inexact 0
		.amdhsa_exception_int_div_zero 0
	.end_amdhsa_kernel
	.section	.text._ZN8rajaperf10lambda_hipILm256EZNS_5basic14MAT_MAT_SHARED17runHipVariantImplILm256EEEvNS_9VariantIDEEUlvE_EEvT0_,"axG",@progbits,_ZN8rajaperf10lambda_hipILm256EZNS_5basic14MAT_MAT_SHARED17runHipVariantImplILm256EEEvNS_9VariantIDEEUlvE_EEvT0_,comdat
.Lfunc_end1:
	.size	_ZN8rajaperf10lambda_hipILm256EZNS_5basic14MAT_MAT_SHARED17runHipVariantImplILm256EEEvNS_9VariantIDEEUlvE_EEvT0_, .Lfunc_end1-_ZN8rajaperf10lambda_hipILm256EZNS_5basic14MAT_MAT_SHARED17runHipVariantImplILm256EEEvNS_9VariantIDEEUlvE_EEvT0_
                                        ; -- End function
	.section	.AMDGPU.csdata,"",@progbits
; Kernel info:
; codeLenInByte = 1052
; NumSgprs: 30
; NumVgprs: 42
; NumAgprs: 0
; TotalNumVgprs: 42
; ScratchSize: 0
; MemoryBound: 0
; FloatMode: 240
; IeeeMode: 1
; LDSByteSize: 6144 bytes/workgroup (compile time only)
; SGPRBlocks: 3
; VGPRBlocks: 5
; NumSGPRsForWavesPerEU: 30
; NumVGPRsForWavesPerEU: 42
; AccumOffset: 44
; Occupancy: 8
; WaveLimiterHint : 0
; COMPUTE_PGM_RSRC2:SCRATCH_EN: 0
; COMPUTE_PGM_RSRC2:USER_SGPR: 6
; COMPUTE_PGM_RSRC2:TRAP_HANDLER: 0
; COMPUTE_PGM_RSRC2:TGID_X_EN: 1
; COMPUTE_PGM_RSRC2:TGID_Y_EN: 1
; COMPUTE_PGM_RSRC2:TGID_Z_EN: 0
; COMPUTE_PGM_RSRC2:TIDIG_COMP_CNT: 1
; COMPUTE_PGM_RSRC3_GFX90A:ACCUM_OFFSET: 10
; COMPUTE_PGM_RSRC3_GFX90A:TG_SPLIT: 0
	.section	.text._ZN4RAJA34launch_new_reduce_global_fcn_fixedIZN8rajaperf5basic14MAT_MAT_SHARED17runHipVariantImplILm256EEEvNS1_9VariantIDEEUlNS_14LaunchContextTINS_3hip33LaunchContextIndicesAndDimsPolicyINS7_14IndicesAndDimsILb0ELb0ELb0ELb0EEEEEEEE_Li256ENS_4expt15ForallParamPackIJEEEEEvT_T1_,"axG",@progbits,_ZN4RAJA34launch_new_reduce_global_fcn_fixedIZN8rajaperf5basic14MAT_MAT_SHARED17runHipVariantImplILm256EEEvNS1_9VariantIDEEUlNS_14LaunchContextTINS_3hip33LaunchContextIndicesAndDimsPolicyINS7_14IndicesAndDimsILb0ELb0ELb0ELb0EEEEEEEE_Li256ENS_4expt15ForallParamPackIJEEEEEvT_T1_,comdat
	.protected	_ZN4RAJA34launch_new_reduce_global_fcn_fixedIZN8rajaperf5basic14MAT_MAT_SHARED17runHipVariantImplILm256EEEvNS1_9VariantIDEEUlNS_14LaunchContextTINS_3hip33LaunchContextIndicesAndDimsPolicyINS7_14IndicesAndDimsILb0ELb0ELb0ELb0EEEEEEEE_Li256ENS_4expt15ForallParamPackIJEEEEEvT_T1_ ; -- Begin function _ZN4RAJA34launch_new_reduce_global_fcn_fixedIZN8rajaperf5basic14MAT_MAT_SHARED17runHipVariantImplILm256EEEvNS1_9VariantIDEEUlNS_14LaunchContextTINS_3hip33LaunchContextIndicesAndDimsPolicyINS7_14IndicesAndDimsILb0ELb0ELb0ELb0EEEEEEEE_Li256ENS_4expt15ForallParamPackIJEEEEEvT_T1_
	.globl	_ZN4RAJA34launch_new_reduce_global_fcn_fixedIZN8rajaperf5basic14MAT_MAT_SHARED17runHipVariantImplILm256EEEvNS1_9VariantIDEEUlNS_14LaunchContextTINS_3hip33LaunchContextIndicesAndDimsPolicyINS7_14IndicesAndDimsILb0ELb0ELb0ELb0EEEEEEEE_Li256ENS_4expt15ForallParamPackIJEEEEEvT_T1_
	.p2align	8
	.type	_ZN4RAJA34launch_new_reduce_global_fcn_fixedIZN8rajaperf5basic14MAT_MAT_SHARED17runHipVariantImplILm256EEEvNS1_9VariantIDEEUlNS_14LaunchContextTINS_3hip33LaunchContextIndicesAndDimsPolicyINS7_14IndicesAndDimsILb0ELb0ELb0ELb0EEEEEEEE_Li256ENS_4expt15ForallParamPackIJEEEEEvT_T1_,@function
_ZN4RAJA34launch_new_reduce_global_fcn_fixedIZN8rajaperf5basic14MAT_MAT_SHARED17runHipVariantImplILm256EEEvNS1_9VariantIDEEUlNS_14LaunchContextTINS_3hip33LaunchContextIndicesAndDimsPolicyINS7_14IndicesAndDimsILb0ELb0ELb0ELb0EEEEEEEE_Li256ENS_4expt15ForallParamPackIJEEEEEvT_T1_: ; @_ZN4RAJA34launch_new_reduce_global_fcn_fixedIZN8rajaperf5basic14MAT_MAT_SHARED17runHipVariantImplILm256EEEvNS1_9VariantIDEEUlNS_14LaunchContextTINS_3hip33LaunchContextIndicesAndDimsPolicyINS7_14IndicesAndDimsILb0ELb0ELb0ELb0EEEEEEEE_Li256ENS_4expt15ForallParamPackIJEEEEEvT_T1_
; %bb.0:
	s_load_dwordx2 s[0:1], s[4:5], 0x0
	s_mov_b32 s10, s7
	s_mov_b32 s7, 0
	;; [unrolled: 1-line block ×3, first 2 shown]
	v_pk_mov_b32 v[2:3], s[10:11], s[10:11] op_sel:[0,1]
	s_waitcnt lgkmcnt(0)
	v_cmp_le_i64_e32 vcc, s[0:1], v[2:3]
	s_cbranch_vccnz .LBB2_20
; %bb.1:
	s_load_dwordx2 s[0:1], s[4:5], 0x8
	v_pk_mov_b32 v[2:3], s[6:7], s[6:7] op_sel:[0,1]
	s_waitcnt lgkmcnt(0)
	v_cmp_le_i64_e32 vcc, s[0:1], v[2:3]
	s_cbranch_vccnz .LBB2_20
; %bb.2:
	s_load_dwordx8 s[12:19], s[4:5], 0x10
	v_bfe_u32 v2, v0, 10, 10
	v_mov_b32_e32 v3, 0
	v_cmp_gt_u32_e64 s[0:1], 16, v2
	s_and_saveexec_b64 s[2:3], s[0:1]
	s_cbranch_execz .LBB2_5
; %bb.3:
	v_and_b32_e32 v1, 0x3ff, v0
	v_cmp_gt_u32_e32 vcc, 16, v1
	s_and_b64 exec, exec, vcc
	s_cbranch_execz .LBB2_5
; %bb.4:
	v_lshlrev_b32_e32 v1, 3, v1
	v_mov_b32_e32 v4, 0
	v_lshl_add_u32 v1, v2, 7, v1
	v_mov_b32_e32 v5, v4
	ds_write_b64 v1, v[4:5] offset:4096
.LBB2_5:
	s_or_b64 exec, exec, s[2:3]
	s_waitcnt lgkmcnt(0)
	v_cmp_lt_i64_e64 s[2:3], s[12:13], 1
	s_and_b64 vcc, exec, s[2:3]
	s_cbranch_vccnz .LBB2_16
; %bb.6:
	v_and_b32_e32 v4, 0x3ff, v0
	s_lshl_b64 s[2:3], s[6:7], 4
	v_mov_b32_e32 v1, s3
	v_add_co_u32_e32 v8, vcc, s2, v4
	v_addc_co_u32_e32 v9, vcc, 0, v1, vcc
	v_or_b32_e32 v6, v2, v4
	s_lshl_b64 s[4:5], s[10:11], 4
	v_cmp_gt_u32_e64 s[2:3], 16, v6
	v_mov_b32_e32 v7, s5
	v_add_co_u32_e32 v6, vcc, s4, v2
	s_add_u32 s4, s12, 15
	v_addc_co_u32_e32 v7, vcc, 0, v7, vcc
	s_addc_u32 s5, s13, 0
	s_lshr_b64 s[20:21], s[4:5], 4
	v_cmp_gt_u64_e64 s[4:5], s[12:13], v[6:7]
	v_mul_lo_u32 v10, s13, v6
	v_mul_lo_u32 v11, s12, v7
	v_mad_u64_u32 v[6:7], s[8:9], s12, v6, 0
	v_add3_u32 v7, v7, v11, v10
	v_lshlrev_b64 v[6:7], 3, v[6:7]
	v_mov_b32_e32 v10, s15
	v_add_co_u32_e32 v6, vcc, s14, v6
	v_cmp_gt_u64_e64 s[8:9], s[12:13], v[8:9]
	v_mad_u64_u32 v[8:9], s[14:15], s12, v2, 0
	v_addc_co_u32_e32 v7, vcc, v10, v7, vcc
	v_mov_b32_e32 v10, v9
	v_lshlrev_b32_e32 v12, 3, v4
	v_mad_u64_u32 v[10:11], s[14:15], s13, v2, v[10:11]
	v_add_co_u32_e32 v6, vcc, v6, v12
	v_mov_b32_e32 v9, v10
	v_addc_co_u32_e32 v7, vcc, 0, v7, vcc
	v_lshlrev_b64 v[8:9], 3, v[8:9]
	s_lshl_b64 s[14:15], s[6:7], 7
	v_mov_b32_e32 v10, s15
	v_add_co_u32_e32 v8, vcc, s14, v8
	v_addc_co_u32_e32 v9, vcc, v9, v10, vcc
	v_add_co_u32_e32 v8, vcc, v8, v12
	v_lshlrev_b32_e32 v1, 7, v2
	v_addc_co_u32_e32 v9, vcc, 0, v9, vcc
	v_add_u32_e32 v16, v1, v12
	v_add_u32_e32 v17, 0x800, v12
	v_mov_b32_e32 v10, s17
	v_add_co_u32_e32 v8, vcc, s16, v8
	v_mov_b32_e32 v5, 0
	v_add_u32_e32 v18, v17, v1
	v_add_u32_e32 v19, 0x1000, v16
	v_addc_co_u32_e32 v9, vcc, v10, v9, vcc
	s_lshl_b64 s[14:15], s[12:13], 7
	v_pk_mov_b32 v[10:11], v[2:3], v[2:3] op_sel:[0,1]
	s_branch .LBB2_8
.LBB2_7:                                ;   in Loop: Header=BB2_8 Depth=1
	s_or_b64 exec, exec, s[16:17]
	v_add_co_u32_e32 v6, vcc, 0x80, v6
	v_addc_co_u32_e32 v7, vcc, 0, v7, vcc
	v_mov_b32_e32 v3, s15
	v_add_co_u32_e32 v8, vcc, s14, v8
	v_addc_co_u32_e32 v9, vcc, v9, v3, vcc
	v_add_co_u32_e32 v10, vcc, 16, v10
	v_addc_co_u32_e32 v11, vcc, 0, v11, vcc
	s_add_u32 s20, s20, -1
	s_addc_u32 s21, s21, -1
	v_add_co_u32_e32 v4, vcc, 16, v4
	s_cmp_eq_u64 s[20:21], 0
	v_addc_co_u32_e32 v5, vcc, 0, v5, vcc
	s_waitcnt lgkmcnt(0)
	s_barrier
	s_cbranch_scc1 .LBB2_16
.LBB2_8:                                ; =>This Inner Loop Header: Depth=1
	s_and_saveexec_b64 s[16:17], s[2:3]
	s_cbranch_execz .LBB2_14
; %bb.9:                                ;   in Loop: Header=BB2_8 Depth=1
	v_cmp_gt_i64_e32 vcc, s[12:13], v[4:5]
	v_pk_mov_b32 v[12:13], 0, 0
	s_and_b64 s[24:25], vcc, s[4:5]
	v_pk_mov_b32 v[14:15], v[12:13], v[12:13] op_sel:[0,1]
	s_and_saveexec_b64 s[22:23], s[24:25]
	s_cbranch_execz .LBB2_11
; %bb.10:                               ;   in Loop: Header=BB2_8 Depth=1
	global_load_dwordx2 v[14:15], v[6:7], off
.LBB2_11:                               ;   in Loop: Header=BB2_8 Depth=1
	s_or_b64 exec, exec, s[22:23]
	v_cmp_gt_i64_e32 vcc, s[12:13], v[10:11]
	s_and_b64 s[24:25], vcc, s[8:9]
	s_waitcnt vmcnt(0)
	ds_write_b64 v16, v[14:15]
	s_and_saveexec_b64 s[22:23], s[24:25]
	s_cbranch_execz .LBB2_13
; %bb.12:                               ;   in Loop: Header=BB2_8 Depth=1
	global_load_dwordx2 v[12:13], v[8:9], off
.LBB2_13:                               ;   in Loop: Header=BB2_8 Depth=1
	s_or_b64 exec, exec, s[22:23]
	s_waitcnt vmcnt(0)
	ds_write_b64 v18, v[12:13]
.LBB2_14:                               ;   in Loop: Header=BB2_8 Depth=1
	s_or_b64 exec, exec, s[16:17]
	s_waitcnt lgkmcnt(0)
	s_barrier
	s_and_saveexec_b64 s[16:17], s[2:3]
	s_cbranch_execz .LBB2_7
; %bb.15:                               ;   in Loop: Header=BB2_8 Depth=1
	ds_read_b64 v[40:41], v19
	ds_read_b128 v[12:15], v1
	ds_read2_b64 v[20:23], v17 offset1:16
	ds_read2_b64 v[24:27], v17 offset0:32 offset1:48
	ds_read_b128 v[28:31], v1 offset:16
	ds_read_b128 v[32:35], v1 offset:32
	s_waitcnt lgkmcnt(3)
	v_fmac_f64_e32 v[40:41], v[12:13], v[20:21]
	v_fmac_f64_e32 v[40:41], v[14:15], v[22:23]
	s_waitcnt lgkmcnt(1)
	v_fmac_f64_e32 v[40:41], v[28:29], v[24:25]
	v_fmac_f64_e32 v[40:41], v[30:31], v[26:27]
	ds_read2_b64 v[12:15], v17 offset0:64 offset1:80
	ds_read2_b64 v[20:23], v17 offset0:96 offset1:112
	ds_read_b128 v[24:27], v1 offset:48
	ds_read_b128 v[28:31], v1 offset:64
	ds_read2_b64 v[36:39], v17 offset0:128 offset1:144
	s_waitcnt lgkmcnt(4)
	v_fmac_f64_e32 v[40:41], v[32:33], v[12:13]
	v_fmac_f64_e32 v[40:41], v[34:35], v[14:15]
	s_waitcnt lgkmcnt(2)
	v_fmac_f64_e32 v[40:41], v[24:25], v[20:21]
	v_fmac_f64_e32 v[40:41], v[26:27], v[22:23]
	;; [unrolled: 3-line block ×3, first 2 shown]
	ds_read2_b64 v[12:15], v17 offset0:160 offset1:176
	ds_read_b128 v[20:23], v1 offset:80
	ds_read_b128 v[24:27], v1 offset:96
	ds_read2_b64 v[28:31], v17 offset0:192 offset1:208
	ds_read_b128 v[32:35], v1 offset:112
	ds_read2_b64 v[36:39], v17 offset0:224 offset1:240
	s_waitcnt lgkmcnt(4)
	v_fmac_f64_e32 v[40:41], v[20:21], v[12:13]
	v_fmac_f64_e32 v[40:41], v[22:23], v[14:15]
	s_waitcnt lgkmcnt(2)
	v_fmac_f64_e32 v[40:41], v[24:25], v[28:29]
	v_fmac_f64_e32 v[40:41], v[26:27], v[30:31]
	;; [unrolled: 3-line block ×3, first 2 shown]
	ds_write_b64 v19, v[40:41]
	s_branch .LBB2_7
.LBB2_16:
	s_and_saveexec_b64 s[2:3], s[0:1]
	s_cbranch_execz .LBB2_20
; %bb.17:
	v_and_b32_e32 v3, 0x3ff, v0
	v_cmp_gt_u32_e32 vcc, 16, v3
	s_and_b64 exec, exec, vcc
	s_cbranch_execz .LBB2_20
; %bb.18:
	s_lshl_b64 s[0:1], s[10:11], 4
	v_mov_b32_e32 v1, s1
	v_or_b32_e32 v0, s0, v2
	s_lshl_b64 s[0:1], s[6:7], 4
	v_or_b32_e32 v4, s0, v3
	v_mov_b32_e32 v5, s1
	v_cmp_gt_i64_e32 vcc, s[12:13], v[0:1]
	v_cmp_gt_i64_e64 s[0:1], s[12:13], v[4:5]
	s_and_b64 s[0:1], vcc, s[0:1]
	s_and_b64 exec, exec, s[0:1]
	s_cbranch_execz .LBB2_20
; %bb.19:
	v_lshlrev_b32_e32 v3, 3, v3
	v_lshl_add_u32 v2, v2, 7, v3
	ds_read_b64 v[2:3], v2 offset:4096
	v_mul_lo_u32 v6, s13, v0
	v_mul_lo_u32 v7, s12, v1
	v_mad_u64_u32 v[0:1], s[0:1], s12, v0, 0
	v_lshlrev_b64 v[4:5], 3, v[4:5]
	v_add3_u32 v1, v1, v7, v6
	v_mov_b32_e32 v6, s19
	v_add_co_u32_e32 v4, vcc, s18, v4
	v_addc_co_u32_e32 v5, vcc, v6, v5, vcc
	v_lshlrev_b64 v[0:1], 3, v[0:1]
	v_add_co_u32_e32 v0, vcc, v4, v0
	v_addc_co_u32_e32 v1, vcc, v5, v1, vcc
	s_waitcnt lgkmcnt(0)
	global_store_dwordx2 v[0:1], v[2:3], off
.LBB2_20:
	s_endpgm
	.section	.rodata,"a",@progbits
	.p2align	6, 0x0
	.amdhsa_kernel _ZN4RAJA34launch_new_reduce_global_fcn_fixedIZN8rajaperf5basic14MAT_MAT_SHARED17runHipVariantImplILm256EEEvNS1_9VariantIDEEUlNS_14LaunchContextTINS_3hip33LaunchContextIndicesAndDimsPolicyINS7_14IndicesAndDimsILb0ELb0ELb0ELb0EEEEEEEE_Li256ENS_4expt15ForallParamPackIJEEEEEvT_T1_
		.amdhsa_group_segment_fixed_size 6144
		.amdhsa_private_segment_fixed_size 0
		.amdhsa_kernarg_size 52
		.amdhsa_user_sgpr_count 6
		.amdhsa_user_sgpr_private_segment_buffer 1
		.amdhsa_user_sgpr_dispatch_ptr 0
		.amdhsa_user_sgpr_queue_ptr 0
		.amdhsa_user_sgpr_kernarg_segment_ptr 1
		.amdhsa_user_sgpr_dispatch_id 0
		.amdhsa_user_sgpr_flat_scratch_init 0
		.amdhsa_user_sgpr_kernarg_preload_length 0
		.amdhsa_user_sgpr_kernarg_preload_offset 0
		.amdhsa_user_sgpr_private_segment_size 0
		.amdhsa_uses_dynamic_stack 0
		.amdhsa_system_sgpr_private_segment_wavefront_offset 0
		.amdhsa_system_sgpr_workgroup_id_x 1
		.amdhsa_system_sgpr_workgroup_id_y 1
		.amdhsa_system_sgpr_workgroup_id_z 0
		.amdhsa_system_sgpr_workgroup_info 0
		.amdhsa_system_vgpr_workitem_id 1
		.amdhsa_next_free_vgpr 42
		.amdhsa_next_free_sgpr 26
		.amdhsa_accum_offset 44
		.amdhsa_reserve_vcc 1
		.amdhsa_reserve_flat_scratch 0
		.amdhsa_float_round_mode_32 0
		.amdhsa_float_round_mode_16_64 0
		.amdhsa_float_denorm_mode_32 3
		.amdhsa_float_denorm_mode_16_64 3
		.amdhsa_dx10_clamp 1
		.amdhsa_ieee_mode 1
		.amdhsa_fp16_overflow 0
		.amdhsa_tg_split 0
		.amdhsa_exception_fp_ieee_invalid_op 0
		.amdhsa_exception_fp_denorm_src 0
		.amdhsa_exception_fp_ieee_div_zero 0
		.amdhsa_exception_fp_ieee_overflow 0
		.amdhsa_exception_fp_ieee_underflow 0
		.amdhsa_exception_fp_ieee_inexact 0
		.amdhsa_exception_int_div_zero 0
	.end_amdhsa_kernel
	.section	.text._ZN4RAJA34launch_new_reduce_global_fcn_fixedIZN8rajaperf5basic14MAT_MAT_SHARED17runHipVariantImplILm256EEEvNS1_9VariantIDEEUlNS_14LaunchContextTINS_3hip33LaunchContextIndicesAndDimsPolicyINS7_14IndicesAndDimsILb0ELb0ELb0ELb0EEEEEEEE_Li256ENS_4expt15ForallParamPackIJEEEEEvT_T1_,"axG",@progbits,_ZN4RAJA34launch_new_reduce_global_fcn_fixedIZN8rajaperf5basic14MAT_MAT_SHARED17runHipVariantImplILm256EEEvNS1_9VariantIDEEUlNS_14LaunchContextTINS_3hip33LaunchContextIndicesAndDimsPolicyINS7_14IndicesAndDimsILb0ELb0ELb0ELb0EEEEEEEE_Li256ENS_4expt15ForallParamPackIJEEEEEvT_T1_,comdat
.Lfunc_end2:
	.size	_ZN4RAJA34launch_new_reduce_global_fcn_fixedIZN8rajaperf5basic14MAT_MAT_SHARED17runHipVariantImplILm256EEEvNS1_9VariantIDEEUlNS_14LaunchContextTINS_3hip33LaunchContextIndicesAndDimsPolicyINS7_14IndicesAndDimsILb0ELb0ELb0ELb0EEEEEEEE_Li256ENS_4expt15ForallParamPackIJEEEEEvT_T1_, .Lfunc_end2-_ZN4RAJA34launch_new_reduce_global_fcn_fixedIZN8rajaperf5basic14MAT_MAT_SHARED17runHipVariantImplILm256EEEvNS1_9VariantIDEEUlNS_14LaunchContextTINS_3hip33LaunchContextIndicesAndDimsPolicyINS7_14IndicesAndDimsILb0ELb0ELb0ELb0EEEEEEEE_Li256ENS_4expt15ForallParamPackIJEEEEEvT_T1_
                                        ; -- End function
	.section	.AMDGPU.csdata,"",@progbits
; Kernel info:
; codeLenInByte = 1052
; NumSgprs: 30
; NumVgprs: 42
; NumAgprs: 0
; TotalNumVgprs: 42
; ScratchSize: 0
; MemoryBound: 0
; FloatMode: 240
; IeeeMode: 1
; LDSByteSize: 6144 bytes/workgroup (compile time only)
; SGPRBlocks: 3
; VGPRBlocks: 5
; NumSGPRsForWavesPerEU: 30
; NumVGPRsForWavesPerEU: 42
; AccumOffset: 44
; Occupancy: 8
; WaveLimiterHint : 0
; COMPUTE_PGM_RSRC2:SCRATCH_EN: 0
; COMPUTE_PGM_RSRC2:USER_SGPR: 6
; COMPUTE_PGM_RSRC2:TRAP_HANDLER: 0
; COMPUTE_PGM_RSRC2:TGID_X_EN: 1
; COMPUTE_PGM_RSRC2:TGID_Y_EN: 1
; COMPUTE_PGM_RSRC2:TGID_Z_EN: 0
; COMPUTE_PGM_RSRC2:TIDIG_COMP_CNT: 1
; COMPUTE_PGM_RSRC3_GFX90A:ACCUM_OFFSET: 10
; COMPUTE_PGM_RSRC3_GFX90A:TG_SPLIT: 0
	.text
	.p2alignl 6, 3212836864
	.fill 256, 4, 3212836864
	.type	__hip_cuid_9a587c805c74cf11,@object ; @__hip_cuid_9a587c805c74cf11
	.section	.bss,"aw",@nobits
	.globl	__hip_cuid_9a587c805c74cf11
__hip_cuid_9a587c805c74cf11:
	.byte	0                               ; 0x0
	.size	__hip_cuid_9a587c805c74cf11, 1

	.ident	"AMD clang version 19.0.0git (https://github.com/RadeonOpenCompute/llvm-project roc-6.4.0 25133 c7fe45cf4b819c5991fe208aaa96edf142730f1d)"
	.section	".note.GNU-stack","",@progbits
	.addrsig
	.addrsig_sym __hip_cuid_9a587c805c74cf11
	.amdgpu_metadata
---
amdhsa.kernels:
  - .agpr_count:     0
    .args:
      - .offset:         0
        .size:           8
        .value_kind:     by_value
      - .address_space:  global
        .offset:         8
        .size:           8
        .value_kind:     global_buffer
      - .address_space:  global
        .offset:         16
        .size:           8
        .value_kind:     global_buffer
      - .address_space:  global
        .offset:         24
        .size:           8
        .value_kind:     global_buffer
    .group_segment_fixed_size: 6144
    .kernarg_segment_align: 8
    .kernarg_segment_size: 32
    .language:       OpenCL C
    .language_version:
      - 2
      - 0
    .max_flat_workgroup_size: 256
    .name:           _ZN8rajaperf5basic14mat_mat_sharedILl16EEEvlPdS2_S2_
    .private_segment_fixed_size: 0
    .sgpr_count:     22
    .sgpr_spill_count: 0
    .symbol:         _ZN8rajaperf5basic14mat_mat_sharedILl16EEEvlPdS2_S2_.kd
    .uniform_work_group_size: 1
    .uses_dynamic_stack: false
    .vgpr_count:     44
    .vgpr_spill_count: 0
    .wavefront_size: 64
  - .agpr_count:     0
    .args:
      - .offset:         0
        .size:           48
        .value_kind:     by_value
    .group_segment_fixed_size: 6144
    .kernarg_segment_align: 8
    .kernarg_segment_size: 48
    .language:       OpenCL C
    .language_version:
      - 2
      - 0
    .max_flat_workgroup_size: 256
    .name:           _ZN8rajaperf10lambda_hipILm256EZNS_5basic14MAT_MAT_SHARED17runHipVariantImplILm256EEEvNS_9VariantIDEEUlvE_EEvT0_
    .private_segment_fixed_size: 0
    .sgpr_count:     30
    .sgpr_spill_count: 0
    .symbol:         _ZN8rajaperf10lambda_hipILm256EZNS_5basic14MAT_MAT_SHARED17runHipVariantImplILm256EEEvNS_9VariantIDEEUlvE_EEvT0_.kd
    .uniform_work_group_size: 1
    .uses_dynamic_stack: false
    .vgpr_count:     42
    .vgpr_spill_count: 0
    .wavefront_size: 64
  - .agpr_count:     0
    .args:
      - .offset:         0
        .size:           48
        .value_kind:     by_value
      - .offset:         48
        .size:           1
        .value_kind:     by_value
    .group_segment_fixed_size: 6144
    .kernarg_segment_align: 8
    .kernarg_segment_size: 52
    .language:       OpenCL C
    .language_version:
      - 2
      - 0
    .max_flat_workgroup_size: 256
    .name:           _ZN4RAJA34launch_new_reduce_global_fcn_fixedIZN8rajaperf5basic14MAT_MAT_SHARED17runHipVariantImplILm256EEEvNS1_9VariantIDEEUlNS_14LaunchContextTINS_3hip33LaunchContextIndicesAndDimsPolicyINS7_14IndicesAndDimsILb0ELb0ELb0ELb0EEEEEEEE_Li256ENS_4expt15ForallParamPackIJEEEEEvT_T1_
    .private_segment_fixed_size: 0
    .sgpr_count:     30
    .sgpr_spill_count: 0
    .symbol:         _ZN4RAJA34launch_new_reduce_global_fcn_fixedIZN8rajaperf5basic14MAT_MAT_SHARED17runHipVariantImplILm256EEEvNS1_9VariantIDEEUlNS_14LaunchContextTINS_3hip33LaunchContextIndicesAndDimsPolicyINS7_14IndicesAndDimsILb0ELb0ELb0ELb0EEEEEEEE_Li256ENS_4expt15ForallParamPackIJEEEEEvT_T1_.kd
    .uniform_work_group_size: 1
    .uses_dynamic_stack: false
    .vgpr_count:     42
    .vgpr_spill_count: 0
    .wavefront_size: 64
amdhsa.target:   amdgcn-amd-amdhsa--gfx90a
amdhsa.version:
  - 1
  - 2
...

	.end_amdgpu_metadata
